;; amdgpu-corpus repo=FlagOpen/FlagGems kind=triton arch=gfx950 opt=O3 lang=triton
	.amdgcn_target "amdgcn-amd-amdhsa--gfx950"
	.amdhsa_code_object_version 5
	.text
	.globl	layer_norm_loop_kernel          ; -- Begin function layer_norm_loop_kernel
	.p2align	8
	.type	layer_norm_loop_kernel,@function
layer_norm_loop_kernel:                 ; @layer_norm_loop_kernel
.Lfunc_begin0:
	.cfi_sections .debug_frame
	.cfi_startproc
; %bb.62:
	.file	1 "/root/src/amdgpu-assembly/repos/FlagOpen__FlagGems/triton_aot_kernels" "layernorm_aot.py"
	.loc	1 56 0 prologue_end             ; layernorm_aot.py:56:0
	s_load_dwordx2 s[2:3], s[0:1], 0x0
	s_load_dwordx8 s[4:11], s[0:1], 0x8
	s_load_dwordx4 s[12:15], s[0:1], 0x28
	s_waitcnt lgkmcnt(0)
	s_branch .LBB0_0
	.loc	1 0 0 is_stmt 0                 ; :0:0
.Ltmp0:
	.p2align	8
; %bb.63:
.LBB0_0:
.Ltmp1:
	.file	2 "/root/.local/lib/python3.13/site-packages/triton/language" "standard.py"
	.loc	2 43 17 is_stmt 1               ; standard.py:43:17 @[ layernorm_aot.py:75:27 ]
	s_add_i32 s18, s15, 0x3ff
	.loc	2 43 30 is_stmt 0               ; standard.py:43:30 @[ layernorm_aot.py:75:27 ]
	s_ashr_i32 s14, s18, 31
	s_lshr_b32 s14, s14, 22
	s_add_i32 s14, s18, s14
.Ltmp2:
	.loc	1 104 33 is_stmt 1              ; layernorm_aot.py:104:33
	v_readfirstlane_b32 s17, v0
.Ltmp3:
	.loc	2 43 30                         ; standard.py:43:30 @[ layernorm_aot.py:75:27 ]
	s_ashr_i32 s33, s14, 10
.Ltmp4:
	.loc	1 79 35                         ; layernorm_aot.py:79:35
	s_mul_i32 s24, s15, s16
	.loc	1 76 37                         ; layernorm_aot.py:76:37
	s_add_i32 s31, s33, -1
	.loc	1 78 43                         ; layernorm_aot.py:78:43
	s_and_b32 s14, s17, 0xc0
	.loc	1 79 29                         ; layernorm_aot.py:79:29
	s_ashr_i32 s25, s24, 31
	.loc	1 78 43                         ; layernorm_aot.py:78:43
	v_and_b32_e32 v14, 63, v0
	s_mov_b32 s30, 0
	v_mov_b32_e32 v4, 0
	.loc	1 76 40                         ; layernorm_aot.py:76:40
	s_cmpk_lt_i32 s18, 0x800
	v_mov_b32_e32 v11, 0
	v_mov_b32_e32 v10, 0
	;; [unrolled: 1-line block ×8, first 2 shown]
	s_cbranch_scc1 .LBB0_4
; %bb.1:                                ; %.lr.ph.preheader
	s_max_i32 s30, s31, 1
	s_lshl_b64 s[18:19], s[24:25], 2
	s_add_u32 s18, s2, s18
	v_add_lshl_u32 v2, s14, v14, 2
	v_mov_b32_e32 v3, v4
	s_addc_u32 s19, s3, s19
	v_lshl_add_u64 v[2:3], s[18:19], 0, v[2:3]
	s_mov_b64 s[18:19], 0xc00
	v_lshl_add_u64 v[2:3], v[2:3], 0, s[18:19]
	s_mov_b32 s28, 0
	s_mov_b64 s[26:27], 0x1000
	v_mov_b32_e32 v5, v4
	v_mov_b32_e32 v6, v4
	;; [unrolled: 1-line block ×7, first 2 shown]
.LBB0_2:                                ; %.lr.ph
                                        ; =>This Inner Loop Header: Depth=1
	.loc	1 79 20                         ; layernorm_aot.py:79:20
	global_load_dword v12, v[2:3], off offset:-3072
	global_load_dword v13, v[2:3], off offset:-2048
	global_load_dword v16, v[2:3], off offset:-1024
	global_load_dword v17, v[2:3], off
	.loc	1 82 15                         ; layernorm_aot.py:82:15
	s_add_i32 s28, s28, 1
	.loc	1 80 31                         ; layernorm_aot.py:80:31
	v_cvt_f32_u32_e32 v1, s28
	.loc	1 76 40                         ; layernorm_aot.py:76:40
	v_lshl_add_u64 v[2:3], v[2:3], 0, s[26:27]
	s_cmp_eq_u32 s30, s28
	.loc	1 80 25                         ; layernorm_aot.py:80:25
	s_waitcnt vmcnt(2)
	v_pk_add_f32 v[18:19], v[12:13], v[10:11] neg_lo:[0,1] neg_hi:[0,1]
	.loc	1 80 31 is_stmt 0               ; layernorm_aot.py:80:31
	s_nop 0
	v_div_scale_f32 v15, s[18:19], v1, v1, v19
	.loc	1 80 25                         ; layernorm_aot.py:80:25
	s_waitcnt vmcnt(0)
	v_pk_add_f32 v[20:21], v[16:17], v[8:9] neg_lo:[0,1] neg_hi:[0,1]
	.loc	1 80 31                         ; layernorm_aot.py:80:31
	v_div_scale_f32 v23, s[18:19], v1, v1, v18
	v_rcp_f32_e32 v29, v15
	v_div_scale_f32 v25, s[20:21], v1, v1, v21
	v_rcp_f32_e32 v30, v23
	;; [unrolled: 2-line block ×3, first 2 shown]
	v_rcp_f32_e32 v32, v27
	v_fma_f32 v33, -v15, v29, 1.0
	v_div_scale_f32 v22, vcc, v19, v1, v19
	v_fma_f32 v34, -v23, v30, 1.0
	v_fmac_f32_e32 v29, v33, v29
	v_div_scale_f32 v24, s[18:19], v18, v1, v18
	v_fma_f32 v35, -v25, v31, 1.0
	v_fmac_f32_e32 v30, v34, v30
	v_mul_f32_e32 v33, v22, v29
	v_div_scale_f32 v26, s[20:21], v21, v1, v21
	v_fma_f32 v36, -v27, v32, 1.0
	v_fmac_f32_e32 v31, v35, v31
	v_mul_f32_e32 v34, v24, v30
	v_fma_f32 v37, -v15, v33, v22
	v_div_scale_f32 v28, s[22:23], v20, v1, v20
	v_fmac_f32_e32 v32, v36, v32
	v_mul_f32_e32 v35, v26, v31
	v_fma_f32 v38, -v23, v34, v24
	v_fmac_f32_e32 v33, v37, v29
	v_mul_f32_e32 v36, v28, v32
	v_fma_f32 v39, -v25, v35, v26
	v_fmac_f32_e32 v34, v38, v30
	v_fma_f32 v15, -v15, v33, v22
	v_fma_f32 v40, -v27, v36, v28
	v_fmac_f32_e32 v35, v39, v31
	v_fma_f32 v22, -v23, v34, v24
	v_div_fmas_f32 v15, v15, v29, v33
	s_mov_b64 vcc, s[18:19]
	v_fmac_f32_e32 v36, v40, v32
	v_fma_f32 v24, -v25, v35, v26
	v_div_fixup_f32 v23, v15, v1, v19
	v_div_fmas_f32 v15, v22, v30, v34
	s_mov_b64 vcc, s[20:21]
	v_fma_f32 v25, -v27, v36, v28
	v_div_fixup_f32 v22, v15, v1, v18
	v_div_fmas_f32 v15, v24, v31, v35
	s_mov_b64 vcc, s[22:23]
	.loc	1 80 20                         ; layernorm_aot.py:80:20
	v_pk_add_f32 v[10:11], v[10:11], v[22:23]
	.loc	1 80 31                         ; layernorm_aot.py:80:31
	v_div_fixup_f32 v23, v15, v1, v21
	v_div_fmas_f32 v15, v25, v32, v36
	v_div_fixup_f32 v22, v15, v1, v20
	.loc	1 81 25 is_stmt 1               ; layernorm_aot.py:81:25
	v_pk_add_f32 v[12:13], v[12:13], v[10:11] neg_lo:[0,1] neg_hi:[0,1]
	.loc	1 80 20                         ; layernorm_aot.py:80:20
	v_pk_add_f32 v[8:9], v[8:9], v[22:23]
	.loc	1 81 20                         ; layernorm_aot.py:81:20
	v_pk_fma_f32 v[6:7], v[18:19], v[12:13], v[6:7]
	.loc	1 81 25 is_stmt 0               ; layernorm_aot.py:81:25
	v_pk_add_f32 v[12:13], v[16:17], v[8:9] neg_lo:[0,1] neg_hi:[0,1]
	.loc	1 81 20                         ; layernorm_aot.py:81:20
	s_nop 0
	v_pk_fma_f32 v[4:5], v[20:21], v[12:13], v[4:5]
	.loc	1 76 40 is_stmt 1               ; layernorm_aot.py:76:40
	s_cbranch_scc0 .LBB0_2
; %bb.3:                                ; %Flow54
	.loc	1 0 40 is_stmt 0                ; layernorm_aot.py:0:40
	v_mov_b32_e32 v1, v4
.LBB0_4:                                ; %Flow55
	s_load_dword s36, s[0:1], 0x38
	.loc	1 79 29 is_stmt 1               ; layernorm_aot.py:79:29
	s_lshl_b64 s[28:29], s[24:25], 2
	s_add_u32 s26, s2, s28
	.loc	1 78 43                         ; layernorm_aot.py:78:43
	v_or_b32_e32 v2, s14, v14
	.loc	1 79 29                         ; layernorm_aot.py:79:29
	s_addc_u32 s27, s3, s29
	.loc	1 88 25                         ; layernorm_aot.py:88:25
	s_lshl_b32 s18, s31, 10
	.loc	1 89 30                         ; layernorm_aot.py:89:30
	v_or_b32_e32 v12, s18, v2
	.loc	1 91 20                         ; layernorm_aot.py:91:20
	v_mov_b32_e32 v17, 0
	.loc	1 90 27                         ; layernorm_aot.py:90:27
	v_cmp_gt_i32_e64 s[0:1], s15, v12
	v_mov_b32_e32 v3, 0
	v_mov_b32_e32 v18, v17
	.loc	1 91 20                         ; layernorm_aot.py:91:20
	s_and_saveexec_b64 s[2:3], s[0:1]
	s_cbranch_execz .LBB0_6
; %bb.5:
	.loc	1 0 20 is_stmt 0                ; layernorm_aot.py:0:20
	v_ashrrev_i32_e32 v13, 31, v12
	v_lshl_add_u64 v[12:13], v[12:13], 2, s[26:27]
	.loc	1 91 20                         ; layernorm_aot.py:91:20
	global_load_dword v18, v[12:13], off
.LBB0_6:
	.loc	1 0 20                          ; layernorm_aot.py:0:20
	s_or_b64 exec, exec, s[2:3]
	.loc	1 78 43 is_stmt 1               ; layernorm_aot.py:78:43
	v_or_b32_e32 v4, 0x100, v2
	.loc	1 89 30                         ; layernorm_aot.py:89:30
	v_or_b32_e32 v12, s18, v4
	.loc	1 91 39                         ; layernorm_aot.py:91:39
	s_ashr_i32 s19, s18, 31
	.loc	1 90 27                         ; layernorm_aot.py:90:27
	v_cmp_gt_i32_e64 s[2:3], s15, v12
	v_lshl_add_u64 v[12:13], s[18:19], 0, v[2:3]
	.loc	1 91 39                         ; layernorm_aot.py:91:39
	v_lshl_add_u64 v[12:13], v[12:13], 2, s[26:27]
	.loc	1 91 20 is_stmt 0               ; layernorm_aot.py:91:20
	s_and_saveexec_b64 s[20:21], s[2:3]
	s_cbranch_execz .LBB0_8
; %bb.7:
	global_load_dword v17, v[12:13], off offset:1024
.LBB0_8:
	.loc	1 0 20                          ; layernorm_aot.py:0:20
	s_or_b64 exec, exec, s[20:21]
	.loc	1 78 43 is_stmt 1               ; layernorm_aot.py:78:43
	v_or_b32_e32 v15, 0x200, v2
	.loc	1 89 30                         ; layernorm_aot.py:89:30
	v_or_b32_e32 v16, s18, v15
	.loc	1 91 20                         ; layernorm_aot.py:91:20
	v_mov_b32_e32 v19, 0
	.loc	1 90 27                         ; layernorm_aot.py:90:27
	v_cmp_gt_i32_e64 s[24:25], s15, v16
	v_mov_b32_e32 v20, v19
	.loc	1 91 20                         ; layernorm_aot.py:91:20
	s_and_saveexec_b64 s[20:21], s[24:25]
	s_cbranch_execz .LBB0_10
; %bb.9:
	global_load_dword v20, v[12:13], off offset:2048
.LBB0_10:
	.loc	1 0 20 is_stmt 0                ; layernorm_aot.py:0:20
	s_or_b64 exec, exec, s[20:21]
	.loc	1 78 43 is_stmt 1               ; layernorm_aot.py:78:43
	v_or_b32_e32 v16, 0x300, v2
	.loc	1 89 30                         ; layernorm_aot.py:89:30
	v_or_b32_e32 v21, s18, v16
	.loc	1 90 27                         ; layernorm_aot.py:90:27
	v_cmp_gt_i32_e64 s[18:19], s15, v21
	.loc	1 91 20                         ; layernorm_aot.py:91:20
	s_and_saveexec_b64 s[20:21], s[18:19]
	s_cbranch_execz .LBB0_12
; %bb.11:
	global_load_dword v19, v[12:13], off offset:3072
.LBB0_12:
	.loc	1 0 20 is_stmt 0                ; layernorm_aot.py:0:20
	s_or_b64 exec, exec, s[20:21]
	.loc	1 92 46 is_stmt 1               ; layernorm_aot.py:92:46
	v_cvt_f32_i32_e32 v23, s33
	.loc	1 92 40 is_stmt 0               ; layernorm_aot.py:92:40
	s_waitcnt vmcnt(0)
	v_sub_f32_e32 v13, v18, v10
	v_sub_f32_e32 v21, v17, v11
	;; [unrolled: 1-line block ×3, first 2 shown]
	.loc	1 92 46                         ; layernorm_aot.py:92:46
	v_div_scale_f32 v24, s[20:21], v23, v23, v13
	v_rcp_f32_e32 v25, v24
	.loc	1 92 40                         ; layernorm_aot.py:92:40
	v_sub_f32_e32 v12, v19, v9
.Ltmp5:
	.loc	2 293 36 is_stmt 1              ; standard.py:293:36 @[ layernorm_aot.py:98:21 ]
	s_lshr_b32 s22, s17, 4
	s_and_b32 s22, s22, 12
.Ltmp6:
	.loc	1 92 46                         ; layernorm_aot.py:92:46
	v_fma_f32 v26, -v24, v25, 1.0
	v_fmac_f32_e32 v25, v26, v25
	v_div_scale_f32 v26, vcc, v13, v23, v13
	v_mul_f32_e32 v27, v26, v25
	v_fma_f32 v28, -v24, v27, v26
	v_fmac_f32_e32 v27, v28, v25
	v_fma_f32 v24, -v24, v27, v26
	v_div_scale_f32 v26, s[20:21], v23, v23, v21
	v_rcp_f32_e32 v28, v26
	v_div_fmas_f32 v24, v24, v25, v27
	v_div_fixup_f32 v24, v24, v23, v13
	.loc	1 92 35 is_stmt 0               ; layernorm_aot.py:92:35
	v_add_f32_e32 v24, v10, v24
	.loc	1 92 46                         ; layernorm_aot.py:92:46
	v_fma_f32 v25, -v26, v28, 1.0
	v_fmac_f32_e32 v28, v25, v28
	v_div_scale_f32 v25, vcc, v21, v23, v21
	v_mul_f32_e32 v27, v25, v28
	v_fma_f32 v29, -v26, v27, v25
	v_fmac_f32_e32 v27, v29, v28
	v_fma_f32 v25, -v26, v27, v25
	v_div_scale_f32 v26, s[20:21], v23, v23, v22
	v_rcp_f32_e32 v29, v26
	v_div_fmas_f32 v25, v25, v28, v27
	v_div_fixup_f32 v25, v25, v23, v21
	.loc	1 92 35                         ; layernorm_aot.py:92:35
	v_add_f32_e32 v25, v11, v25
	.loc	1 92 46                         ; layernorm_aot.py:92:46
	v_fma_f32 v27, -v26, v29, 1.0
	v_fmac_f32_e32 v29, v27, v29
	v_div_scale_f32 v27, vcc, v22, v23, v22
	v_mul_f32_e32 v28, v27, v29
	v_fma_f32 v30, -v26, v28, v27
	v_fmac_f32_e32 v28, v30, v29
	v_fma_f32 v26, -v26, v28, v27
	v_div_scale_f32 v27, s[20:21], v23, v23, v12
	v_rcp_f32_e32 v30, v27
	v_div_fmas_f32 v26, v26, v29, v28
	v_div_fixup_f32 v26, v26, v23, v22
	.loc	1 92 35                         ; layernorm_aot.py:92:35
	v_add_f32_e32 v26, v8, v26
	.loc	1 92 46                         ; layernorm_aot.py:92:46
	v_fma_f32 v28, -v27, v30, 1.0
	v_fmac_f32_e32 v30, v28, v30
	v_div_scale_f32 v28, vcc, v12, v23, v12
	v_mul_f32_e32 v29, v28, v30
	v_fma_f32 v31, -v27, v29, v28
	v_fmac_f32_e32 v29, v31, v30
	v_fma_f32 v27, -v27, v29, v28
	v_div_fmas_f32 v27, v27, v30, v29
	v_div_fixup_f32 v23, v27, v23, v12
	.loc	1 92 35                         ; layernorm_aot.py:92:35
	v_add_f32_e32 v27, v9, v23
	.loc	1 92 57                         ; layernorm_aot.py:92:57
	v_cndmask_b32_e64 v10, v10, v24, s[0:1]
	v_cndmask_b32_e64 v24, v9, v27, s[18:19]
	.loc	1 94 23 is_stmt 1               ; layernorm_aot.py:94:23
	v_cndmask_b32_e64 v9, 0, 1, s[2:3]
	.loc	1 92 57                         ; layernorm_aot.py:92:57
	v_cndmask_b32_e64 v11, v11, v25, s[2:3]
	v_cndmask_b32_e64 v23, v8, v26, s[24:25]
	.loc	1 94 23                         ; layernorm_aot.py:94:23
	v_cndmask_b32_e64 v8, 0, 1, s[0:1]
	v_cndmask_b32_e64 v25, 0, 1, s[24:25]
	.loc	1 94 15 is_stmt 0               ; layernorm_aot.py:94:15
	v_add_u32_e32 v9, s30, v9
	v_add_u32_e32 v8, s30, v8
	;; [unrolled: 1-line block ×3, first 2 shown]
	.loc	1 98 25 is_stmt 1               ; layernorm_aot.py:98:25
	v_cvt_f32_i32_e32 v25, v9
	.loc	1 94 23                         ; layernorm_aot.py:94:23
	v_cndmask_b32_e64 v26, 0, 1, s[18:19]
	.loc	1 98 25                         ; layernorm_aot.py:98:25
	v_cvt_f32_i32_e32 v28, v8
	.loc	1 94 15                         ; layernorm_aot.py:94:15
	v_add_u32_e32 v29, s30, v26
	.loc	1 98 25                         ; layernorm_aot.py:98:25
	v_cvt_f32_i32_e32 v26, v27
	v_cvt_f32_i32_e32 v27, v29
	v_mul_f32_e32 v8, v11, v25
.Ltmp7:
	.loc	2 263 15                        ; standard.py:263:15 @[ standard.py:293:36 @[ layernorm_aot.py:98:21 ] ]
	v_fmac_f32_e32 v8, v10, v28
	v_fmac_f32_e32 v8, v23, v26
	;; [unrolled: 1-line block ×3, first 2 shown]
.Ltmp8:
	.loc	2 293 36                        ; standard.py:293:36 @[ layernorm_aot.py:98:21 ]
	v_cmp_eq_u32_e64 s[20:21], 0, v14
	s_add_i32 s37, s22, 0
.Ltmp9:
	.loc	2 263 15                        ; standard.py:263:15 @[ standard.py:293:36 @[ layernorm_aot.py:98:21 ] ]
	v_add_f32_dpp v8, v8, v8 row_shr:8 row_mask:0xf bank_mask:0xf bound_ctrl:1
	s_nop 1
	v_add_f32_dpp v8, v8, v8 row_shr:4 row_mask:0xf bank_mask:0xf bound_ctrl:1
	s_nop 1
	;; [unrolled: 2-line block ×3, first 2 shown]
	v_add_f32_dpp v8, v8, v8 row_shr:1 row_mask:0xf bank_mask:0xf bound_ctrl:1
.Ltmp10:
	.loc	2 293 36                        ; standard.py:293:36 @[ layernorm_aot.py:98:21 ]
	v_mov_b32_e32 v9, v8
	s_nop 1
	v_mov_b32_dpp v9, v9 row_bcast:15 row_mask:0xa bank_mask:0xf bound_ctrl:1
.Ltmp11:
	.loc	2 263 15                        ; standard.py:263:15 @[ standard.py:293:36 @[ layernorm_aot.py:98:21 ] ]
	v_add_f32_e32 v8, v8, v9
	s_nop 1
	v_add_f32_dpp v8, v8, v8 row_bcast:31 row_mask:0xf bank_mask:0xf bound_ctrl:1
.Ltmp12:
	.loc	2 293 36                        ; standard.py:293:36 @[ layernorm_aot.py:98:21 ]
	s_nop 0
	v_readlane_b32 s30, v8, 63
	s_and_saveexec_b64 s[22:23], s[20:21]
; %bb.13:
	v_mov_b32_e32 v8, s37
	v_mov_b32_e32 v9, s30
	ds_write_b32 v8, v9
; %bb.14:
	.loc	2 0 36 is_stmt 0                ; standard.py:0:36
	s_or_b64 exec, exec, s[22:23]
	.loc	2 293 36                        ; standard.py:293:36 @[ layernorm_aot.py:98:21 ]
	v_cmp_gt_u32_e64 s[22:23], 4, v0
	v_lshl_add_u32 v9, v0, 2, 0
.Ltmp13:
	.loc	1 98 21 is_stmt 1               ; layernorm_aot.py:98:21
	v_mov_b32_e32 v8, 0
.Ltmp14:
	.loc	2 293 36                        ; standard.py:293:36 @[ layernorm_aot.py:98:21 ]
	s_waitcnt lgkmcnt(0)
	s_barrier
	s_and_saveexec_b64 s[30:31], s[22:23]
; %bb.15:
	ds_read_b32 v8, v9
; %bb.16:
	.loc	2 0 36 is_stmt 0                ; standard.py:0:36
	s_or_b64 exec, exec, s[30:31]
	.loc	2 293 36                        ; standard.py:293:36 @[ layernorm_aot.py:98:21 ]
	s_waitcnt lgkmcnt(0)
	v_mov_b32_e32 v29, v8
	v_and_b32_e32 v0, 3, v0
	v_cmp_eq_u32_e32 vcc, 0, v0
	v_mov_b32_dpp v29, v29 quad_perm:[2,3,0,1] row_mask:0xf bank_mask:0xf
.Ltmp15:
	.loc	2 263 15 is_stmt 1              ; standard.py:263:15 @[ standard.py:293:36 @[ layernorm_aot.py:98:21 ] ]
	v_add_f32_e32 v8, v8, v29
.Ltmp16:
	.loc	2 293 36                        ; standard.py:293:36 @[ layernorm_aot.py:98:21 ]
	v_mov_b32_e32 v29, v8
	s_and_b64 s[30:31], s[22:23], vcc
	s_nop 0
	v_mov_b32_dpp v29, v29 quad_perm:[1,0,3,2] row_mask:0xf bank_mask:0xf
	s_and_saveexec_b64 s[34:35], s[30:31]
; %bb.17:
	.loc	2 0 36 is_stmt 0                ; standard.py:0:36
	v_add_f32_e32 v0, v8, v29
	.loc	2 293 36                        ; standard.py:293:36 @[ layernorm_aot.py:98:21 ]
	ds_write_b32 v9, v0
.Ltmp17:
; %bb.18:
	.loc	2 0 36                          ; standard.py:0:36
	s_or_b64 exec, exec, s[34:35]
	.loc	1 93 40 is_stmt 1               ; layernorm_aot.py:93:40
	v_sub_f32_e32 v0, v18, v10
	.loc	1 93 35 is_stmt 0               ; layernorm_aot.py:93:35
	v_fma_f32 v13, v13, v0, v6
.Ltmp18:
	.loc	2 293 36 is_stmt 1              ; standard.py:293:36 @[ layernorm_aot.py:98:21 ]
	v_mov_b32_e32 v0, 0
.Ltmp19:
	.loc	1 93 40                         ; layernorm_aot.py:93:40
	v_sub_f32_e32 v18, v19, v24
.Ltmp20:
	.loc	2 293 36                        ; standard.py:293:36 @[ layernorm_aot.py:98:21 ]
	s_waitcnt lgkmcnt(0)
	s_barrier
	ds_read_b32 v19, v0
.Ltmp21:
	.loc	1 98 32                         ; layernorm_aot.py:98:32
	v_cvt_f32_i32_e32 v0, s15
	.loc	1 93 58                         ; layernorm_aot.py:93:58
	v_cndmask_b32_e64 v6, v6, v13, s[0:1]
	.loc	1 93 35 is_stmt 0               ; layernorm_aot.py:93:35
	v_fma_f32 v12, v12, v18, v5
	.loc	1 93 40                         ; layernorm_aot.py:93:40
	v_sub_f32_e32 v8, v17, v11
	.loc	1 98 32 is_stmt 1               ; layernorm_aot.py:98:32
	s_waitcnt lgkmcnt(0)
	v_div_scale_f32 v13, s[0:1], v0, v0, v19
	v_rcp_f32_e32 v18, v13
	.loc	1 93 35                         ; layernorm_aot.py:93:35
	v_fma_f32 v8, v21, v8, v7
	.loc	1 93 58 is_stmt 0               ; layernorm_aot.py:93:58
	v_cndmask_b32_e64 v7, v7, v8, s[2:3]
	.loc	1 93 40                         ; layernorm_aot.py:93:40
	v_sub_f32_e32 v17, v20, v23
	.loc	1 98 32 is_stmt 1               ; layernorm_aot.py:98:32
	v_fma_f32 v8, -v13, v18, 1.0
	v_fmac_f32_e32 v18, v8, v18
	v_div_scale_f32 v8, vcc, v19, v0, v19
	.loc	1 93 35                         ; layernorm_aot.py:93:35
	v_fma_f32 v17, v22, v17, v1
	.loc	1 93 58 is_stmt 0               ; layernorm_aot.py:93:58
	v_cndmask_b32_e64 v5, v5, v12, s[18:19]
	.loc	1 98 32 is_stmt 1               ; layernorm_aot.py:98:32
	v_mul_f32_e32 v12, v8, v18
	.loc	1 93 58                         ; layernorm_aot.py:93:58
	v_cndmask_b32_e64 v1, v1, v17, s[24:25]
	.loc	1 98 32                         ; layernorm_aot.py:98:32
	v_fma_f32 v17, -v13, v12, v8
	v_fmac_f32_e32 v12, v17, v18
	v_fma_f32 v8, -v13, v12, v8
	v_div_fmas_f32 v8, v8, v18, v12
	v_div_fixup_f32 v8, v8, v0, v19
	.loc	1 99 32                         ; layernorm_aot.py:99:32
	v_sub_f32_e32 v10, v10, v8
	v_sub_f32_e32 v11, v11, v8
	;; [unrolled: 1-line block ×3, first 2 shown]
	.loc	1 99 28 is_stmt 0               ; layernorm_aot.py:99:28
	v_mul_f32_e32 v17, v10, v28
	v_mul_f32_e32 v18, v11, v25
	.loc	1 99 32                         ; layernorm_aot.py:99:32
	v_sub_f32_e32 v13, v24, v8
	.loc	1 99 28                         ; layernorm_aot.py:99:28
	v_mul_f32_e32 v19, v12, v26
	.loc	1 99 21                         ; layernorm_aot.py:99:21
	v_fmac_f32_e32 v6, v10, v17
	v_fmac_f32_e32 v7, v11, v18
	.loc	1 99 28                         ; layernorm_aot.py:99:28
	v_mul_f32_e32 v20, v13, v27
	.loc	1 99 21                         ; layernorm_aot.py:99:21
	v_fmac_f32_e32 v1, v12, v19
.Ltmp22:
	.loc	2 263 15 is_stmt 1              ; standard.py:263:15 @[ standard.py:293:36 @[ layernorm_aot.py:99:17 ] ]
	v_add_f32_e32 v6, v6, v7
.Ltmp23:
	.loc	1 99 21                         ; layernorm_aot.py:99:21
	v_fmac_f32_e32 v5, v13, v20
.Ltmp24:
	.loc	2 263 15                        ; standard.py:263:15 @[ standard.py:293:36 @[ layernorm_aot.py:99:17 ] ]
	v_add_f32_e32 v1, v1, v6
	v_add_f32_e32 v1, v5, v1
.Ltmp25:
	.loc	2 293 36                        ; standard.py:293:36 @[ layernorm_aot.py:99:17 ]
	s_waitcnt lgkmcnt(0)
	s_barrier
.Ltmp26:
	.loc	2 263 15                        ; standard.py:263:15 @[ standard.py:293:36 @[ layernorm_aot.py:99:17 ] ]
	v_add_f32_dpp v1, v1, v1 row_shr:8 row_mask:0xf bank_mask:0xf bound_ctrl:1
	s_nop 1
	v_add_f32_dpp v1, v1, v1 row_shr:4 row_mask:0xf bank_mask:0xf bound_ctrl:1
	s_nop 1
	;; [unrolled: 2-line block ×3, first 2 shown]
	v_add_f32_dpp v1, v1, v1 row_shr:1 row_mask:0xf bank_mask:0xf bound_ctrl:1
.Ltmp27:
	.loc	2 293 36                        ; standard.py:293:36 @[ layernorm_aot.py:99:17 ]
	v_mov_b32_e32 v5, v1
	s_nop 1
	v_mov_b32_dpp v5, v5 row_bcast:15 row_mask:0xa bank_mask:0xf bound_ctrl:1
.Ltmp28:
	.loc	2 263 15                        ; standard.py:263:15 @[ standard.py:293:36 @[ layernorm_aot.py:99:17 ] ]
	v_add_f32_e32 v1, v5, v1
	s_nop 1
	v_add_f32_dpp v1, v1, v1 row_bcast:31 row_mask:0xf bank_mask:0xf bound_ctrl:1
.Ltmp29:
	.loc	2 293 36                        ; standard.py:293:36 @[ layernorm_aot.py:99:17 ]
	s_nop 0
	v_readlane_b32 s2, v1, 63
	s_and_saveexec_b64 s[0:1], s[20:21]
; %bb.19:
	v_mov_b32_e32 v1, s37
	v_mov_b32_e32 v5, s2
	ds_write_b32 v1, v5
.Ltmp30:
; %bb.20:
	.loc	2 0 36 is_stmt 0                ; standard.py:0:36
	s_or_b64 exec, exec, s[0:1]
	.loc	1 99 17 is_stmt 1               ; layernorm_aot.py:99:17
	v_mov_b32_e32 v1, 0
.Ltmp31:
	.loc	2 293 36                        ; standard.py:293:36 @[ layernorm_aot.py:99:17 ]
	s_waitcnt lgkmcnt(0)
	s_barrier
	s_and_saveexec_b64 s[0:1], s[22:23]
; %bb.21:
	ds_read_b32 v1, v9
; %bb.22:
	.loc	2 0 36 is_stmt 0                ; standard.py:0:36
	s_or_b64 exec, exec, s[0:1]
	.loc	2 293 36                        ; standard.py:293:36 @[ layernorm_aot.py:99:17 ]
	s_waitcnt lgkmcnt(0)
	v_mov_b32_e32 v5, v1
	s_nop 1
	v_mov_b32_dpp v5, v5 quad_perm:[2,3,0,1] row_mask:0xf bank_mask:0xf
.Ltmp32:
	.loc	2 263 15 is_stmt 1              ; standard.py:263:15 @[ standard.py:293:36 @[ layernorm_aot.py:99:17 ] ]
	v_add_f32_e32 v1, v1, v5
.Ltmp33:
	.loc	2 293 36                        ; standard.py:293:36 @[ layernorm_aot.py:99:17 ]
	v_mov_b32_e32 v5, v1
	s_nop 1
	v_mov_b32_dpp v5, v5 quad_perm:[1,0,3,2] row_mask:0xf bank_mask:0xf
	s_and_saveexec_b64 s[0:1], s[30:31]
; %bb.23:
	.loc	2 0 36 is_stmt 0                ; standard.py:0:36
	v_add_f32_e32 v1, v1, v5
	.loc	2 293 36                        ; standard.py:293:36 @[ layernorm_aot.py:99:17 ]
	ds_write_b32 v9, v1
; %bb.24:
	.loc	2 0 36                          ; standard.py:0:36
	s_or_b64 exec, exec, s[0:1]
	.loc	2 293 36                        ; standard.py:293:36 @[ layernorm_aot.py:99:17 ]
	v_mov_b32_e32 v1, 0
	s_waitcnt lgkmcnt(0)
	s_barrier
	ds_read_b32 v5, v1
.Ltmp34:
	.loc	1 99 60 is_stmt 1               ; layernorm_aot.py:99:60
	s_waitcnt lgkmcnt(0)
	v_div_scale_f32 v6, s[0:1], v0, v0, v5
	v_rcp_f32_e32 v7, v6
	v_div_scale_f32 v9, vcc, v5, v0, v5
	.loc	1 144 48                        ; layernorm_aot.py:144:48
	s_lshr_b32 s0, s17, 6
	.loc	1 99 60                         ; layernorm_aot.py:99:60
	v_fma_f32 v10, -v6, v7, 1.0
	v_fmac_f32_e32 v7, v10, v7
	v_mul_f32_e32 v10, v9, v7
	v_fma_f32 v11, -v6, v10, v9
	v_fmac_f32_e32 v10, v11, v7
	v_fma_f32 v6, -v6, v10, v9
	v_div_fmas_f32 v6, v6, v7, v10
	v_div_fixup_f32 v0, v6, v0, v5
	.loc	1 100 31                        ; layernorm_aot.py:100:31
	v_add_f32_e32 v0, s36, v0
	.loc	1 100 25 is_stmt 0              ; layernorm_aot.py:100:25
	v_rsq_f32_e32 v9, v0
	.loc	1 103 33 is_stmt 1              ; layernorm_aot.py:103:33
	v_or_b32_e32 v0, s0, v14
	v_cmp_eq_u32_e32 vcc, 0, v0
	s_and_saveexec_b64 s[0:1], vcc
	s_cbranch_execz .LBB0_26
; %bb.25:
	.loc	1 0 33 is_stmt 0                ; layernorm_aot.py:0:33
	s_ashr_i32 s17, s16, 31
	s_lshl_b64 s[2:3], s[16:17], 2
	s_add_u32 s12, s12, s2
	s_addc_u32 s13, s13, s3
	s_add_u32 s2, s10, s2
	s_addc_u32 s3, s11, s3
	.loc	1 103 33                        ; layernorm_aot.py:103:33
	global_store_dword v1, v8, s[2:3]
	.loc	1 104 33 is_stmt 1              ; layernorm_aot.py:104:33
	global_store_dword v1, v9, s[12:13]
.LBB0_26:                               ; %.critedge
	.loc	1 0 33 is_stmt 0                ; layernorm_aot.py:0:33
	s_or_b64 exec, exec, s[0:1]
.Ltmp35:
	.loc	1 53 27 is_stmt 1               ; layernorm_aot.py:53:27 @[ layernorm_aot.py:108:40 ]
	s_lshl_b32 s16, s33, 10
	.loc	1 53 31 is_stmt 0               ; layernorm_aot.py:53:31 @[ layernorm_aot.py:108:40 ]
	s_add_i32 s10, s16, 0xfffffc00
.Ltmp36:
	.loc	1 111 48 is_stmt 1              ; layernorm_aot.py:111:48
	v_or_b32_e32 v0, s10, v2
	.loc	1 114 12                        ; layernorm_aot.py:114:12
	v_mov_b32_e32 v10, 0
	.loc	1 112 27                        ; layernorm_aot.py:112:27
	v_cmp_gt_i32_e32 vcc, s15, v0
	v_ashrrev_i32_e32 v1, 31, v0
	v_mov_b32_e32 v12, v10
	.loc	1 114 12                        ; layernorm_aot.py:114:12
	s_and_saveexec_b64 s[0:1], vcc
	s_cbranch_execz .LBB0_28
; %bb.27:
	.loc	1 0 12 is_stmt 0                ; layernorm_aot.py:0:12
	v_lshl_add_u64 v[6:7], v[0:1], 2, s[26:27]
	.loc	1 114 12                        ; layernorm_aot.py:114:12
	global_load_dword v12, v[6:7], off
.LBB0_28:
	.loc	1 0 12                          ; layernorm_aot.py:0:12
	s_or_b64 exec, exec, s[0:1]
	.loc	1 111 48 is_stmt 1              ; layernorm_aot.py:111:48
	v_or_b32_e32 v4, s10, v4
	.loc	1 114 31                        ; layernorm_aot.py:114:31
	s_ashr_i32 s11, s10, 31
	.loc	1 112 27                        ; layernorm_aot.py:112:27
	v_cmp_gt_i32_e64 s[0:1], s15, v4
	v_lshl_add_u64 v[4:5], v[2:3], 0, s[10:11]
	.loc	1 114 31                        ; layernorm_aot.py:114:31
	v_lshl_add_u64 v[6:7], v[4:5], 2, s[26:27]
	.loc	1 114 12 is_stmt 0              ; layernorm_aot.py:114:12
	s_and_saveexec_b64 s[2:3], s[0:1]
	s_cbranch_execz .LBB0_30
; %bb.29:
	global_load_dword v10, v[6:7], off offset:1024
.LBB0_30:
	.loc	1 0 12                          ; layernorm_aot.py:0:12
	s_or_b64 exec, exec, s[2:3]
	.loc	1 111 48 is_stmt 1              ; layernorm_aot.py:111:48
	v_or_b32_e32 v11, s10, v15
	.loc	1 112 27                        ; layernorm_aot.py:112:27
	v_cmp_gt_i32_e64 s[2:3], s15, v11
	.loc	1 114 12                        ; layernorm_aot.py:114:12
	v_mov_b32_e32 v11, 0
	v_mov_b32_e32 v13, v11
	s_and_saveexec_b64 s[12:13], s[2:3]
	s_cbranch_execz .LBB0_32
; %bb.31:
	global_load_dword v13, v[6:7], off offset:2048
.LBB0_32:
	.loc	1 0 12 is_stmt 0                ; layernorm_aot.py:0:12
	s_or_b64 exec, exec, s[12:13]
	.loc	1 111 48 is_stmt 1              ; layernorm_aot.py:111:48
	v_or_b32_e32 v15, s10, v16
	.loc	1 112 27                        ; layernorm_aot.py:112:27
	v_cmp_gt_i32_e64 s[10:11], s15, v15
	.loc	1 114 12                        ; layernorm_aot.py:114:12
	s_and_saveexec_b64 s[12:13], s[10:11]
	s_cbranch_execz .LBB0_34
; %bb.33:
	global_load_dword v11, v[6:7], off offset:3072
.LBB0_34:
	.loc	1 0 12 is_stmt 0                ; layernorm_aot.py:0:12
	s_or_b64 exec, exec, s[12:13]
	.loc	1 122 24 is_stmt 1              ; layernorm_aot.py:122:24
	v_mov_b32_e32 v15, 0
	v_mov_b32_e32 v17, v15
	s_and_saveexec_b64 s[12:13], vcc
	s_cbranch_execz .LBB0_36
; %bb.35:
	.loc	1 0 24 is_stmt 0                ; layernorm_aot.py:0:24
	v_lshl_add_u64 v[6:7], v[0:1], 2, s[6:7]
	.loc	1 122 24                        ; layernorm_aot.py:122:24
	global_load_dword v17, v[6:7], off
.LBB0_36:
	.loc	1 0 24                          ; layernorm_aot.py:0:24
	s_or_b64 exec, exec, s[12:13]
	.loc	1 122 37                        ; layernorm_aot.py:122:37
	v_lshl_add_u64 v[6:7], v[4:5], 2, s[6:7]
	.loc	1 122 24                        ; layernorm_aot.py:122:24
	s_and_saveexec_b64 s[12:13], s[0:1]
	s_cbranch_execz .LBB0_38
; %bb.37:
	global_load_dword v15, v[6:7], off offset:1024
.LBB0_38:
	.loc	1 0 24                          ; layernorm_aot.py:0:24
	s_or_b64 exec, exec, s[12:13]
	.loc	1 122 24                        ; layernorm_aot.py:122:24
	v_mov_b32_e32 v16, 0
	v_mov_b32_e32 v18, v16
	s_and_saveexec_b64 s[12:13], s[2:3]
	s_cbranch_execz .LBB0_40
; %bb.39:
	global_load_dword v18, v[6:7], off offset:2048
.LBB0_40:
	.loc	1 0 24                          ; layernorm_aot.py:0:24
	s_or_b64 exec, exec, s[12:13]
	.loc	1 122 24                        ; layernorm_aot.py:122:24
	s_and_saveexec_b64 s[12:13], s[10:11]
	s_cbranch_execz .LBB0_42
; %bb.41:
	global_load_dword v16, v[6:7], off offset:3072
.LBB0_42:
	.loc	1 0 24                          ; layernorm_aot.py:0:24
	s_or_b64 exec, exec, s[12:13]
	.loc	1 126 24 is_stmt 1              ; layernorm_aot.py:126:24
	v_mov_b32_e32 v19, 0
	v_mov_b32_e32 v21, v19
	s_and_saveexec_b64 s[12:13], vcc
	s_cbranch_execz .LBB0_44
; %bb.43:
	.loc	1 0 24 is_stmt 0                ; layernorm_aot.py:0:24
	v_lshl_add_u64 v[6:7], v[0:1], 2, s[8:9]
	.loc	1 126 24                        ; layernorm_aot.py:126:24
	global_load_dword v21, v[6:7], off
.LBB0_44:
	.loc	1 0 24                          ; layernorm_aot.py:0:24
	s_or_b64 exec, exec, s[12:13]
	.loc	1 126 35                        ; layernorm_aot.py:126:35
	v_lshl_add_u64 v[6:7], v[4:5], 2, s[8:9]
	.loc	1 126 24                        ; layernorm_aot.py:126:24
	s_and_saveexec_b64 s[12:13], s[0:1]
	s_cbranch_execz .LBB0_46
; %bb.45:
	global_load_dword v19, v[6:7], off offset:1024
.LBB0_46:
	.loc	1 0 24                          ; layernorm_aot.py:0:24
	s_or_b64 exec, exec, s[12:13]
	.loc	1 126 24                        ; layernorm_aot.py:126:24
	v_mov_b32_e32 v20, 0
	v_mov_b32_e32 v22, v20
	s_and_saveexec_b64 s[12:13], s[2:3]
	s_cbranch_execz .LBB0_48
; %bb.47:
	global_load_dword v22, v[6:7], off offset:2048
.LBB0_48:
	.loc	1 0 24                          ; layernorm_aot.py:0:24
	s_or_b64 exec, exec, s[12:13]
	.loc	1 126 24                        ; layernorm_aot.py:126:24
	s_and_saveexec_b64 s[12:13], s[10:11]
	s_cbranch_execz .LBB0_50
; %bb.49:
	global_load_dword v20, v[6:7], off offset:3072
.LBB0_50:
	.loc	1 0 24                          ; layernorm_aot.py:0:24
	s_or_b64 exec, exec, s[12:13]
	.loc	1 128 27 is_stmt 1              ; layernorm_aot.py:128:27
	s_add_u32 s4, s4, s28
	s_addc_u32 s5, s5, s29
	.loc	1 128 48 is_stmt 0              ; layernorm_aot.py:128:48
	s_and_saveexec_b64 s[12:13], vcc
	s_cbranch_execnz .LBB0_55
; %bb.51:
	.loc	1 0 48                          ; layernorm_aot.py:0:48
	s_or_b64 exec, exec, s[12:13]
	.loc	1 128 37                        ; layernorm_aot.py:128:37
	v_lshl_add_u64 v[0:1], v[4:5], 2, s[4:5]
	.loc	1 128 48                        ; layernorm_aot.py:128:48
	s_and_saveexec_b64 s[12:13], s[0:1]
	s_cbranch_execnz .LBB0_56
.LBB0_52:
	.loc	1 0 48                          ; layernorm_aot.py:0:48
	s_or_b64 exec, exec, s[12:13]
	.loc	1 128 48                        ; layernorm_aot.py:128:48
	s_and_saveexec_b64 s[0:1], s[2:3]
	s_cbranch_execnz .LBB0_57
.LBB0_53:
	.loc	1 0 48                          ; layernorm_aot.py:0:48
	s_or_b64 exec, exec, s[0:1]
	.loc	1 128 48                        ; layernorm_aot.py:128:48
	s_and_saveexec_b64 s[0:1], s[10:11]
	s_cbranch_execnz .LBB0_58
.LBB0_54:
	.loc	1 0 48                          ; layernorm_aot.py:0:48
	s_or_b64 exec, exec, s[0:1]
	.loc	1 130 36 is_stmt 1              ; layernorm_aot.py:130:36
	s_cmpk_lt_i32 s15, 0x401
	s_cbranch_scc0 .LBB0_59
	s_branch .LBB0_61
.LBB0_55:
	.loc	1 0 36 is_stmt 0                ; layernorm_aot.py:0:36
	s_waitcnt vmcnt(0)
	v_sub_f32_e32 v6, v12, v8
	v_mul_f32_e32 v6, v6, v17
	v_lshl_add_u64 v[0:1], v[0:1], 2, s[4:5]
	v_fmac_f32_e32 v21, v9, v6
	.loc	1 128 48 is_stmt 1              ; layernorm_aot.py:128:48
	global_store_dword v[0:1], v21, off
	s_or_b64 exec, exec, s[12:13]
	.loc	1 128 37 is_stmt 0              ; layernorm_aot.py:128:37
	v_lshl_add_u64 v[0:1], v[4:5], 2, s[4:5]
	.loc	1 128 48                        ; layernorm_aot.py:128:48
	s_and_saveexec_b64 s[12:13], s[0:1]
	s_cbranch_execz .LBB0_52
.LBB0_56:
	.loc	1 127 23 is_stmt 1              ; layernorm_aot.py:127:23
	s_waitcnt vmcnt(0)
	v_sub_f32_e32 v4, v10, v8
	.loc	1 127 19 is_stmt 0              ; layernorm_aot.py:127:19
	v_mul_f32_e32 v4, v4, v15
	.loc	1 127 35                        ; layernorm_aot.py:127:35
	v_fmac_f32_e32 v19, v9, v4
	.loc	1 128 48 is_stmt 1              ; layernorm_aot.py:128:48
	global_store_dword v[0:1], v19, off offset:1024
	s_or_b64 exec, exec, s[12:13]
	s_and_saveexec_b64 s[0:1], s[2:3]
	s_cbranch_execz .LBB0_53
.LBB0_57:
	.loc	1 127 23                        ; layernorm_aot.py:127:23
	s_waitcnt vmcnt(0)
	v_sub_f32_e32 v4, v13, v8
	.loc	1 127 19 is_stmt 0              ; layernorm_aot.py:127:19
	v_mul_f32_e32 v4, v4, v18
	.loc	1 127 35                        ; layernorm_aot.py:127:35
	v_fmac_f32_e32 v22, v9, v4
	.loc	1 128 48 is_stmt 1              ; layernorm_aot.py:128:48
	global_store_dword v[0:1], v22, off offset:2048
	s_or_b64 exec, exec, s[0:1]
	s_and_saveexec_b64 s[0:1], s[10:11]
	s_cbranch_execz .LBB0_54
.LBB0_58:
	.loc	1 127 23                        ; layernorm_aot.py:127:23
	s_waitcnt vmcnt(0)
	v_sub_f32_e32 v4, v11, v8
	.loc	1 127 19 is_stmt 0              ; layernorm_aot.py:127:19
	v_mul_f32_e32 v4, v4, v16
	.loc	1 127 35                        ; layernorm_aot.py:127:35
	v_fmac_f32_e32 v20, v9, v4
	.loc	1 128 48 is_stmt 1              ; layernorm_aot.py:128:48
	global_store_dword v[0:1], v20, off offset:3072
	s_or_b64 exec, exec, s[0:1]
	.loc	1 130 36                        ; layernorm_aot.py:130:36
	s_cmpk_lt_i32 s15, 0x401
	s_cbranch_scc1 .LBB0_61
.LBB0_59:                               ; %.lr.ph12.preheader
	s_add_i32 s0, s16, 0xfffff800
	v_add_u32_e32 v0, s14, v14
	s_movk_i32 s2, 0x400
.LBB0_60:                               ; %.lr.ph12
                                        ; =>This Inner Loop Header: Depth=1
	.loc	1 132 39                        ; layernorm_aot.py:132:39
	v_add_u32_e32 v4, s0, v0
	s_ashr_i32 s1, s0, 31
	v_ashrrev_i32_e32 v5, 31, v4
	v_lshl_add_u64 v[6:7], s[0:1], 0, v[2:3]
	v_lshlrev_b64 v[4:5], 2, v[4:5]
	v_lshlrev_b64 v[6:7], 2, v[6:7]
	s_waitcnt vmcnt(0)
	v_lshl_add_u64 v[10:11], s[26:27], 0, v[4:5]
	v_lshl_add_u64 v[12:13], s[26:27], 0, v[6:7]
	.loc	1 138 37                        ; layernorm_aot.py:138:37
	v_lshl_add_u64 v[14:15], s[6:7], 0, v[4:5]
	v_lshl_add_u64 v[16:17], s[6:7], 0, v[6:7]
	.loc	1 142 35                        ; layernorm_aot.py:142:35
	;; [unrolled: 3-line block ×3, first 2 shown]
	global_load_dword v1, v[10:11], off
	global_load_dword v22, v[12:13], off offset:1024
	global_load_dword v23, v[12:13], off offset:2048
	global_load_dword v24, v[12:13], off offset:3072
	.loc	1 138 24                        ; layernorm_aot.py:138:24
	global_load_dword v25, v[14:15], off
	global_load_dword v26, v[16:17], off offset:1024
	global_load_dword v27, v[16:17], off offset:2048
	global_load_dword v28, v[16:17], off offset:3072
	.loc	1 142 24                        ; layernorm_aot.py:142:24
	;; [unrolled: 5-line block ×3, first 2 shown]
	s_addk_i32 s2, 0x400
	s_addk_i32 s0, 0xfc00
	s_cmp_lt_i32 s2, s15
	.loc	1 144 37                        ; layernorm_aot.py:144:37
	v_lshl_add_u64 v[4:5], s[4:5], 0, v[4:5]
	v_lshl_add_u64 v[6:7], s[4:5], 0, v[6:7]
	.loc	1 143 23                        ; layernorm_aot.py:143:23
	s_waitcnt vmcnt(11)
	v_sub_f32_e32 v1, v1, v8
	s_waitcnt vmcnt(10)
	v_sub_f32_e32 v10, v22, v8
	;; [unrolled: 2-line block ×4, first 2 shown]
	.loc	1 143 19 is_stmt 0              ; layernorm_aot.py:143:19
	s_waitcnt vmcnt(7)
	v_mul_f32_e32 v1, v1, v25
	s_waitcnt vmcnt(6)
	v_mul_f32_e32 v10, v10, v26
	;; [unrolled: 2-line block ×4, first 2 shown]
	.loc	1 143 35                        ; layernorm_aot.py:143:35
	s_waitcnt vmcnt(3)
	v_fmac_f32_e32 v29, v9, v1
	s_waitcnt vmcnt(2)
	v_fmac_f32_e32 v30, v9, v10
	;; [unrolled: 2-line block ×4, first 2 shown]
	.loc	1 144 48 is_stmt 1              ; layernorm_aot.py:144:48
	global_store_dword v[4:5], v29, off
	global_store_dword v[6:7], v30, off offset:1024
	global_store_dword v[6:7], v31, off offset:2048
	;; [unrolled: 1-line block ×3, first 2 shown]
	.loc	1 130 36                        ; layernorm_aot.py:130:36
	s_cbranch_scc1 .LBB0_60
.LBB0_61:                               ; %._crit_edge
	.loc	1 130 4 is_stmt 0               ; layernorm_aot.py:130:4
	s_endpgm
.Ltmp37:
	.section	.rodata,"a",@progbits
	.p2align	6, 0x0
	.amdhsa_kernel layer_norm_loop_kernel
		.amdhsa_group_segment_fixed_size 0
		.amdhsa_private_segment_fixed_size 0
		.amdhsa_kernarg_size 80
		.amdhsa_user_sgpr_count 16
		.amdhsa_user_sgpr_dispatch_ptr 0
		.amdhsa_user_sgpr_queue_ptr 0
		.amdhsa_user_sgpr_kernarg_segment_ptr 1
		.amdhsa_user_sgpr_dispatch_id 0
		.amdhsa_user_sgpr_kernarg_preload_length 14
		.amdhsa_user_sgpr_kernarg_preload_offset 0
		.amdhsa_user_sgpr_private_segment_size 0
		.amdhsa_uses_dynamic_stack 0
		.amdhsa_enable_private_segment 0
		.amdhsa_system_sgpr_workgroup_id_x 1
		.amdhsa_system_sgpr_workgroup_id_y 0
		.amdhsa_system_sgpr_workgroup_id_z 0
		.amdhsa_system_sgpr_workgroup_info 0
		.amdhsa_system_vgpr_workitem_id 0
		.amdhsa_next_free_vgpr 41
		.amdhsa_next_free_sgpr 38
		.amdhsa_accum_offset 44
		.amdhsa_reserve_vcc 1
		.amdhsa_reserve_xnack_mask 1
		.amdhsa_float_round_mode_32 0
		.amdhsa_float_round_mode_16_64 0
		.amdhsa_float_denorm_mode_32 3
		.amdhsa_float_denorm_mode_16_64 3
		.amdhsa_dx10_clamp 1
		.amdhsa_ieee_mode 1
		.amdhsa_fp16_overflow 0
		.amdhsa_tg_split 0
		.amdhsa_exception_fp_ieee_invalid_op 0
		.amdhsa_exception_fp_denorm_src 0
		.amdhsa_exception_fp_ieee_div_zero 0
		.amdhsa_exception_fp_ieee_overflow 0
		.amdhsa_exception_fp_ieee_underflow 0
		.amdhsa_exception_fp_ieee_inexact 0
		.amdhsa_exception_int_div_zero 0
	.end_amdhsa_kernel
	.text
.Lfunc_end0:
	.size	layer_norm_loop_kernel, .Lfunc_end0-layer_norm_loop_kernel
	.cfi_endproc
                                        ; -- End function
	.set layer_norm_loop_kernel.num_vgpr, 41
	.set layer_norm_loop_kernel.num_agpr, 0
	.set layer_norm_loop_kernel.numbered_sgpr, 38
	.set layer_norm_loop_kernel.num_named_barrier, 0
	.set layer_norm_loop_kernel.private_seg_size, 0
	.set layer_norm_loop_kernel.uses_vcc, 1
	.set layer_norm_loop_kernel.uses_flat_scratch, 0
	.set layer_norm_loop_kernel.has_dyn_sized_stack, 0
	.set layer_norm_loop_kernel.has_recursion, 0
	.set layer_norm_loop_kernel.has_indirect_call, 0
	.section	.AMDGPU.csdata,"",@progbits
; Kernel info:
; codeLenInByte = 3428
; TotalNumSgprs: 44
; NumVgprs: 41
; NumAgprs: 0
; TotalNumVgprs: 41
; ScratchSize: 0
; MemoryBound: 0
; FloatMode: 240
; IeeeMode: 1
; LDSByteSize: 0 bytes/workgroup (compile time only)
; SGPRBlocks: 5
; VGPRBlocks: 5
; NumSGPRsForWavesPerEU: 44
; NumVGPRsForWavesPerEU: 41
; AccumOffset: 44
; Occupancy: 8
; WaveLimiterHint : 1
; COMPUTE_PGM_RSRC2:SCRATCH_EN: 0
; COMPUTE_PGM_RSRC2:USER_SGPR: 16
; COMPUTE_PGM_RSRC2:TRAP_HANDLER: 0
; COMPUTE_PGM_RSRC2:TGID_X_EN: 1
; COMPUTE_PGM_RSRC2:TGID_Y_EN: 0
; COMPUTE_PGM_RSRC2:TGID_Z_EN: 0
; COMPUTE_PGM_RSRC2:TIDIG_COMP_CNT: 0
; COMPUTE_PGM_RSRC3_GFX90A:ACCUM_OFFSET: 10
; COMPUTE_PGM_RSRC3_GFX90A:TG_SPLIT: 0
	.text
	.p2alignl 6, 3212836864
	.fill 256, 4, 3212836864
	.section	.AMDGPU.gpr_maximums,"",@progbits
	.set amdgpu.max_num_vgpr, 0
	.set amdgpu.max_num_agpr, 0
	.set amdgpu.max_num_sgpr, 0
	.set amdgpu.max_num_named_barrier, 0
	.text
	.section	.debug_abbrev,"",@progbits
	.byte	1                               ; Abbreviation Code
	.byte	17                              ; DW_TAG_compile_unit
	.byte	1                               ; DW_CHILDREN_yes
	.byte	37                              ; DW_AT_producer
	.byte	14                              ; DW_FORM_strp
	.byte	19                              ; DW_AT_language
	.byte	5                               ; DW_FORM_data2
	.byte	3                               ; DW_AT_name
	.byte	14                              ; DW_FORM_strp
	.byte	16                              ; DW_AT_stmt_list
	.byte	23                              ; DW_FORM_sec_offset
	.byte	27                              ; DW_AT_comp_dir
	.byte	14                              ; DW_FORM_strp
	.byte	17                              ; DW_AT_low_pc
	.byte	1                               ; DW_FORM_addr
	.byte	18                              ; DW_AT_high_pc
	.byte	6                               ; DW_FORM_data4
	.byte	0                               ; EOM(1)
	.byte	0                               ; EOM(2)
	.byte	2                               ; Abbreviation Code
	.byte	46                              ; DW_TAG_subprogram
	.byte	0                               ; DW_CHILDREN_no
	.byte	3                               ; DW_AT_name
	.byte	14                              ; DW_FORM_strp
	.byte	32                              ; DW_AT_inline
	.byte	11                              ; DW_FORM_data1
	.byte	0                               ; EOM(1)
	.byte	0                               ; EOM(2)
	.byte	3                               ; Abbreviation Code
	.byte	46                              ; DW_TAG_subprogram
	.byte	1                               ; DW_CHILDREN_yes
	.byte	17                              ; DW_AT_low_pc
	.byte	1                               ; DW_FORM_addr
	.byte	18                              ; DW_AT_high_pc
	.byte	6                               ; DW_FORM_data4
	.byte	49                              ; DW_AT_abstract_origin
	.byte	19                              ; DW_FORM_ref4
	.byte	0                               ; EOM(1)
	.byte	0                               ; EOM(2)
	.byte	4                               ; Abbreviation Code
	.byte	29                              ; DW_TAG_inlined_subroutine
	.byte	0                               ; DW_CHILDREN_no
	.byte	49                              ; DW_AT_abstract_origin
	.byte	19                              ; DW_FORM_ref4
	.byte	85                              ; DW_AT_ranges
	.byte	23                              ; DW_FORM_sec_offset
	.byte	88                              ; DW_AT_call_file
	.byte	11                              ; DW_FORM_data1
	.byte	89                              ; DW_AT_call_line
	.byte	11                              ; DW_FORM_data1
	.byte	87                              ; DW_AT_call_column
	.byte	11                              ; DW_FORM_data1
	.byte	0                               ; EOM(1)
	.byte	0                               ; EOM(2)
	.byte	5                               ; Abbreviation Code
	.byte	29                              ; DW_TAG_inlined_subroutine
	.byte	1                               ; DW_CHILDREN_yes
	.byte	49                              ; DW_AT_abstract_origin
	.byte	19                              ; DW_FORM_ref4
	.byte	85                              ; DW_AT_ranges
	.byte	23                              ; DW_FORM_sec_offset
	.byte	88                              ; DW_AT_call_file
	.byte	11                              ; DW_FORM_data1
	.byte	89                              ; DW_AT_call_line
	.byte	11                              ; DW_FORM_data1
	.byte	87                              ; DW_AT_call_column
	.byte	11                              ; DW_FORM_data1
	.byte	0                               ; EOM(1)
	.byte	0                               ; EOM(2)
	.byte	6                               ; Abbreviation Code
	.byte	29                              ; DW_TAG_inlined_subroutine
	.byte	0                               ; DW_CHILDREN_no
	.byte	49                              ; DW_AT_abstract_origin
	.byte	19                              ; DW_FORM_ref4
	.byte	85                              ; DW_AT_ranges
	.byte	23                              ; DW_FORM_sec_offset
	.byte	88                              ; DW_AT_call_file
	.byte	11                              ; DW_FORM_data1
	.byte	89                              ; DW_AT_call_line
	.byte	5                               ; DW_FORM_data2
	.byte	87                              ; DW_AT_call_column
	.byte	11                              ; DW_FORM_data1
	.byte	0                               ; EOM(1)
	.byte	0                               ; EOM(2)
	.byte	7                               ; Abbreviation Code
	.byte	29                              ; DW_TAG_inlined_subroutine
	.byte	0                               ; DW_CHILDREN_no
	.byte	49                              ; DW_AT_abstract_origin
	.byte	19                              ; DW_FORM_ref4
	.byte	17                              ; DW_AT_low_pc
	.byte	1                               ; DW_FORM_addr
	.byte	18                              ; DW_AT_high_pc
	.byte	6                               ; DW_FORM_data4
	.byte	88                              ; DW_AT_call_file
	.byte	11                              ; DW_FORM_data1
	.byte	89                              ; DW_AT_call_line
	.byte	11                              ; DW_FORM_data1
	.byte	87                              ; DW_AT_call_column
	.byte	11                              ; DW_FORM_data1
	.byte	0                               ; EOM(1)
	.byte	0                               ; EOM(2)
	;; [unrolled: 1-line block ×3, first 2 shown]
	.section	.debug_info,"",@progbits
.Lcu_begin0:
	.long	.Ldebug_info_end0-.Ldebug_info_start0 ; Length of Unit
.Ldebug_info_start0:
	.short	4                               ; DWARF version number
	.long	.debug_abbrev                   ; Offset Into Abbrev. Section
	.byte	8                               ; Address Size (in bytes)
	.byte	1                               ; Abbrev [1] 0xb:0x8c DW_TAG_compile_unit
	.long	.Linfo_string0                  ; DW_AT_producer
	.short	2                               ; DW_AT_language
	.long	.Linfo_string1                  ; DW_AT_name
	.long	.Lline_table_start0             ; DW_AT_stmt_list
	.long	.Linfo_string2                  ; DW_AT_comp_dir
	.quad	.Lfunc_begin0                   ; DW_AT_low_pc
	.long	.Lfunc_end0-.Lfunc_begin0       ; DW_AT_high_pc
	.byte	2                               ; Abbrev [2] 0x2a:0x6 DW_TAG_subprogram
	.long	.Linfo_string3                  ; DW_AT_name
	.byte	1                               ; DW_AT_inline
	.byte	3                               ; Abbrev [3] 0x30:0x66 DW_TAG_subprogram
	.quad	.Lfunc_begin0                   ; DW_AT_low_pc
	.long	.Lfunc_end0-.Lfunc_begin0       ; DW_AT_high_pc
	.long	42                              ; DW_AT_abstract_origin
	.byte	4                               ; Abbrev [4] 0x41:0xc DW_TAG_inlined_subroutine
	.long	42                              ; DW_AT_abstract_origin
	.long	.Ldebug_ranges0                 ; DW_AT_ranges
	.byte	1                               ; DW_AT_call_file
	.byte	75                              ; DW_AT_call_line
	.byte	27                              ; DW_AT_call_column
	.byte	5                               ; Abbrev [5] 0x4d:0x1a DW_TAG_inlined_subroutine
	.long	42                              ; DW_AT_abstract_origin
	.long	.Ldebug_ranges1                 ; DW_AT_ranges
	.byte	1                               ; DW_AT_call_file
	.byte	98                              ; DW_AT_call_line
	.byte	21                              ; DW_AT_call_column
	.byte	6                               ; Abbrev [6] 0x59:0xd DW_TAG_inlined_subroutine
	.long	42                              ; DW_AT_abstract_origin
	.long	.Ldebug_ranges2                 ; DW_AT_ranges
	.byte	2                               ; DW_AT_call_file
	.short	293                             ; DW_AT_call_line
	.byte	36                              ; DW_AT_call_column
	.byte	0                               ; End Of Children Mark
	.byte	5                               ; Abbrev [5] 0x67:0x1a DW_TAG_inlined_subroutine
	.long	42                              ; DW_AT_abstract_origin
	.long	.Ldebug_ranges3                 ; DW_AT_ranges
	.byte	1                               ; DW_AT_call_file
	.byte	99                              ; DW_AT_call_line
	.byte	17                              ; DW_AT_call_column
	.byte	6                               ; Abbrev [6] 0x73:0xd DW_TAG_inlined_subroutine
	.long	42                              ; DW_AT_abstract_origin
	.long	.Ldebug_ranges4                 ; DW_AT_ranges
	.byte	2                               ; DW_AT_call_file
	.short	293                             ; DW_AT_call_line
	.byte	36                              ; DW_AT_call_column
	.byte	0                               ; End Of Children Mark
	.byte	7                               ; Abbrev [7] 0x81:0x14 DW_TAG_inlined_subroutine
	.long	42                              ; DW_AT_abstract_origin
	.quad	.Ltmp35                         ; DW_AT_low_pc
	.long	.Ltmp36-.Ltmp35                 ; DW_AT_high_pc
	.byte	1                               ; DW_AT_call_file
	.byte	108                             ; DW_AT_call_line
	.byte	40                              ; DW_AT_call_column
	.byte	0                               ; End Of Children Mark
	.byte	0                               ; End Of Children Mark
.Ldebug_info_end0:
	.section	.debug_ranges,"",@progbits
.Ldebug_ranges0:
	.quad	.Ltmp1-.Lfunc_begin0
	.quad	.Ltmp2-.Lfunc_begin0
	;; [unrolled: 1-line block ×4, first 2 shown]
	.quad	0
	.quad	0
.Ldebug_ranges1:
	.quad	.Ltmp5-.Lfunc_begin0
	.quad	.Ltmp6-.Lfunc_begin0
	;; [unrolled: 1-line block ×10, first 2 shown]
	.quad	0
	.quad	0
.Ldebug_ranges2:
	.quad	.Ltmp7-.Lfunc_begin0
	.quad	.Ltmp8-.Lfunc_begin0
	;; [unrolled: 1-line block ×8, first 2 shown]
	.quad	0
	.quad	0
.Ldebug_ranges3:
	.quad	.Ltmp22-.Lfunc_begin0
	.quad	.Ltmp23-.Lfunc_begin0
	;; [unrolled: 1-line block ×6, first 2 shown]
	.quad	0
	.quad	0
.Ldebug_ranges4:
	.quad	.Ltmp22-.Lfunc_begin0
	.quad	.Ltmp23-.Lfunc_begin0
	;; [unrolled: 1-line block ×10, first 2 shown]
	.quad	0
	.quad	0
	.section	.debug_str,"MS",@progbits,1
.Linfo_string0:
	.asciz	"triton"                        ; string offset=0
.Linfo_string1:
	.asciz	"layernorm_aot.py"              ; string offset=7
.Linfo_string2:
	.asciz	"/root/src/amdgpu-assembly/repos/FlagOpen__FlagGems/triton_aot_kernels" ; string offset=24
.Linfo_string3:
	.asciz	"layer_norm_loop_kernel"        ; string offset=94
	.section	".note.GNU-stack","",@progbits
	.amdgpu_metadata
---
amdhsa.kernels:
  - .agpr_count:     0
    .args:
      - .address_space:  global
        .offset:         0
        .size:           8
        .value_kind:     global_buffer
      - .address_space:  global
        .offset:         8
        .size:           8
        .value_kind:     global_buffer
      - .address_space:  global
        .offset:         16
        .size:           8
        .value_kind:     global_buffer
      - .address_space:  global
        .offset:         24
        .size:           8
        .value_kind:     global_buffer
      - .address_space:  global
        .offset:         32
        .size:           8
        .value_kind:     global_buffer
      - .address_space:  global
        .offset:         40
        .size:           8
        .value_kind:     global_buffer
      - .offset:         48
        .size:           4
        .value_kind:     by_value
      - .offset:         52
        .size:           4
        .value_kind:     by_value
      - .offset:         56
        .size:           4
        .value_kind:     by_value
      - .address_space:  global
        .offset:         64
        .size:           8
        .value_kind:     global_buffer
      - .address_space:  global
        .offset:         72
        .size:           8
        .value_kind:     global_buffer
    .group_segment_fixed_size: 0
    .kernarg_segment_align: 8
    .kernarg_segment_size: 80
    .max_flat_workgroup_size: 256
    .name:           layer_norm_loop_kernel
    .private_segment_fixed_size: 0
    .sgpr_count:     44
    .sgpr_spill_count: 0
    .symbol:         layer_norm_loop_kernel.kd
    .uniform_work_group_size: 1
    .uses_dynamic_stack: false
    .vgpr_count:     41
    .vgpr_spill_count: 0
    .wavefront_size: 64
amdhsa.target:   amdgcn-amd-amdhsa--gfx950
amdhsa.version:
  - 1
  - 2
...

	.end_amdgpu_metadata
	.section	.debug_line,"",@progbits
.Lline_table_start0:
